;; amdgpu-corpus repo=ROCm/rocFFT kind=compiled arch=gfx1201 opt=O3
	.text
	.amdgcn_target "amdgcn-amd-amdhsa--gfx1201"
	.amdhsa_code_object_version 6
	.protected	bluestein_single_fwd_len392_dim1_dp_op_CI_CI ; -- Begin function bluestein_single_fwd_len392_dim1_dp_op_CI_CI
	.globl	bluestein_single_fwd_len392_dim1_dp_op_CI_CI
	.p2align	8
	.type	bluestein_single_fwd_len392_dim1_dp_op_CI_CI,@function
bluestein_single_fwd_len392_dim1_dp_op_CI_CI: ; @bluestein_single_fwd_len392_dim1_dp_op_CI_CI
; %bb.0:
	s_load_b128 s[8:11], s[0:1], 0x28
	v_mul_u32_u24_e32 v1, 0x493, v0
	s_mov_b32 s2, exec_lo
	v_mov_b32_e32 v81, 0
	s_delay_alu instid0(VALU_DEP_2) | instskip(NEXT) | instid1(VALU_DEP_1)
	v_lshrrev_b32_e32 v1, 16, v1
	v_add_nc_u32_e32 v80, ttmp9, v1
	s_wait_kmcnt 0x0
	s_delay_alu instid0(VALU_DEP_1)
	v_cmpx_gt_u64_e64 s[8:9], v[80:81]
	s_cbranch_execz .LBB0_15
; %bb.1:
	s_clause 0x1
	s_load_b64 s[12:13], s[0:1], 0x0
	s_load_b64 s[8:9], s[0:1], 0x38
	v_mul_lo_u16 v1, v1, 56
	s_delay_alu instid0(VALU_DEP_1) | instskip(NEXT) | instid1(VALU_DEP_1)
	v_sub_nc_u16 v0, v0, v1
	v_and_b32_e32 v81, 0xffff, v0
	v_cmp_gt_u16_e32 vcc_lo, 49, v0
	s_delay_alu instid0(VALU_DEP_2)
	v_lshlrev_b32_e32 v82, 4, v81
	s_and_saveexec_b32 s3, vcc_lo
	s_cbranch_execz .LBB0_3
; %bb.2:
	s_load_b64 s[4:5], s[0:1], 0x18
	s_wait_kmcnt 0x0
	s_load_b128 s[4:7], s[4:5], 0x0
	s_wait_kmcnt 0x0
	v_mad_co_u64_u32 v[0:1], null, s6, v80, 0
	v_mad_co_u64_u32 v[2:3], null, s4, v81, 0
	s_delay_alu instid0(VALU_DEP_1) | instskip(NEXT) | instid1(VALU_DEP_1)
	v_mad_co_u64_u32 v[4:5], null, s7, v80, v[1:2]
	v_mad_co_u64_u32 v[5:6], null, s5, v81, v[3:4]
	v_mov_b32_e32 v1, v4
	s_mul_u64 s[4:5], s[4:5], 0x310
	s_delay_alu instid0(VALU_DEP_1) | instskip(NEXT) | instid1(VALU_DEP_3)
	v_lshlrev_b64_e32 v[0:1], 4, v[0:1]
	v_mov_b32_e32 v3, v5
	s_delay_alu instid0(VALU_DEP_2) | instskip(NEXT) | instid1(VALU_DEP_2)
	v_add_co_u32 v0, s2, s10, v0
	v_lshlrev_b64_e32 v[2:3], 4, v[2:3]
	s_delay_alu instid0(VALU_DEP_4) | instskip(NEXT) | instid1(VALU_DEP_2)
	v_add_co_ci_u32_e64 v1, s2, s11, v1, s2
	v_add_co_u32 v24, s2, v0, v2
	s_wait_alu 0xf1ff
	s_delay_alu instid0(VALU_DEP_2)
	v_add_co_ci_u32_e64 v25, s2, v1, v3, s2
	s_clause 0x1
	global_load_b128 v[0:3], v82, s[12:13]
	global_load_b128 v[4:7], v82, s[12:13] offset:784
	s_wait_alu 0xfffe
	v_add_co_u32 v28, s2, v24, s4
	s_wait_alu 0xf1ff
	v_add_co_ci_u32_e64 v29, s2, s5, v25, s2
	s_clause 0x1
	global_load_b128 v[8:11], v82, s[12:13] offset:1568
	global_load_b128 v[12:15], v82, s[12:13] offset:2352
	v_add_co_u32 v32, s2, v28, s4
	s_wait_alu 0xf1ff
	v_add_co_ci_u32_e64 v33, s2, s5, v29, s2
	s_clause 0x1
	global_load_b128 v[16:19], v82, s[12:13] offset:3136
	global_load_b128 v[20:23], v82, s[12:13] offset:3920
	v_add_co_u32 v36, s2, v32, s4
	s_wait_alu 0xf1ff
	v_add_co_ci_u32_e64 v37, s2, s5, v33, s2
	s_clause 0x1
	global_load_b128 v[24:27], v[24:25], off
	global_load_b128 v[28:31], v[28:29], off
	v_add_co_u32 v40, s2, v36, s4
	s_wait_alu 0xf1ff
	v_add_co_ci_u32_e64 v41, s2, s5, v37, s2
	s_clause 0x1
	global_load_b128 v[32:35], v[32:33], off
	global_load_b128 v[36:39], v[36:37], off
	v_add_co_u32 v44, s2, v40, s4
	s_wait_alu 0xf1ff
	v_add_co_ci_u32_e64 v45, s2, s5, v41, s2
	global_load_b128 v[40:43], v[40:41], off
	v_add_co_u32 v48, s2, v44, s4
	s_wait_alu 0xf1ff
	v_add_co_ci_u32_e64 v49, s2, s5, v45, s2
	s_delay_alu instid0(VALU_DEP_2) | instskip(SKIP_1) | instid1(VALU_DEP_2)
	v_add_co_u32 v60, s2, v48, s4
	s_wait_alu 0xf1ff
	v_add_co_ci_u32_e64 v61, s2, s5, v49, s2
	global_load_b128 v[44:47], v[44:45], off
	global_load_b128 v[48:51], v[48:49], off
	s_clause 0x1
	global_load_b128 v[52:55], v82, s[12:13] offset:4704
	global_load_b128 v[56:59], v82, s[12:13] offset:5488
	global_load_b128 v[60:63], v[60:61], off
	s_wait_loadcnt 0x9
	v_mul_f64_e32 v[64:65], v[26:27], v[2:3]
	v_mul_f64_e32 v[2:3], v[24:25], v[2:3]
	s_wait_loadcnt 0x8
	v_mul_f64_e32 v[66:67], v[30:31], v[6:7]
	v_mul_f64_e32 v[6:7], v[28:29], v[6:7]
	;; [unrolled: 3-line block ×8, first 2 shown]
	v_fma_f64 v[22:23], v[24:25], v[0:1], v[64:65]
	v_fma_f64 v[24:25], v[26:27], v[0:1], -v[2:3]
	v_fma_f64 v[0:1], v[28:29], v[4:5], v[66:67]
	v_fma_f64 v[2:3], v[30:31], v[4:5], -v[6:7]
	;; [unrolled: 2-line block ×8, first 2 shown]
	ds_store_b128 v82, v[22:25]
	ds_store_b128 v82, v[0:3] offset:784
	ds_store_b128 v82, v[4:7] offset:1568
	;; [unrolled: 1-line block ×7, first 2 shown]
.LBB0_3:
	s_or_b32 exec_lo, exec_lo, s3
	s_clause 0x1
	s_load_b64 s[2:3], s[0:1], 0x20
	s_load_b64 s[4:5], s[0:1], 0x8
	global_wb scope:SCOPE_SE
	s_wait_dscnt 0x0
	s_wait_kmcnt 0x0
	s_barrier_signal -1
	s_barrier_wait -1
	global_inv scope:SCOPE_SE
                                        ; implicit-def: $vgpr0_vgpr1
                                        ; implicit-def: $vgpr4_vgpr5
                                        ; implicit-def: $vgpr20_vgpr21
                                        ; implicit-def: $vgpr28_vgpr29
                                        ; implicit-def: $vgpr24_vgpr25
                                        ; implicit-def: $vgpr16_vgpr17
                                        ; implicit-def: $vgpr12_vgpr13
                                        ; implicit-def: $vgpr8_vgpr9
	s_and_saveexec_b32 s0, vcc_lo
	s_cbranch_execz .LBB0_5
; %bb.4:
	ds_load_b128 v[0:3], v82
	ds_load_b128 v[8:11], v82 offset:784
	ds_load_b128 v[4:7], v82 offset:1568
	;; [unrolled: 1-line block ×7, first 2 shown]
.LBB0_5:
	s_wait_alu 0xfffe
	s_or_b32 exec_lo, exec_lo, s0
	s_wait_dscnt 0x3
	v_add_f64_e64 v[32:33], v[0:1], -v[16:17]
	v_add_f64_e64 v[34:35], v[2:3], -v[18:19]
	s_wait_dscnt 0x1
	v_add_f64_e64 v[36:37], v[4:5], -v[24:25]
	v_add_f64_e64 v[42:43], v[6:7], -v[26:27]
	;; [unrolled: 1-line block ×4, first 2 shown]
	s_wait_dscnt 0x0
	v_add_f64_e64 v[40:41], v[14:15], -v[30:31]
	v_add_f64_e64 v[38:39], v[12:13], -v[28:29]
	s_mov_b32 s0, 0x667f3bcd
	s_mov_b32 s1, 0x3fe6a09e
	;; [unrolled: 1-line block ×3, first 2 shown]
	s_wait_alu 0xfffe
	s_mov_b32 s6, s0
	v_lshlrev_b16 v83, 3, v81
	global_wb scope:SCOPE_SE
	s_barrier_signal -1
	s_barrier_wait -1
	global_inv scope:SCOPE_SE
	v_add_f64_e32 v[18:19], v[36:37], v[34:35]
	v_add_f64_e64 v[16:17], v[32:33], -v[42:43]
	v_add_f64_e64 v[28:29], v[20:21], -v[40:41]
	v_add_f64_e32 v[30:31], v[38:39], v[22:23]
	s_delay_alu instid0(VALU_DEP_2) | instskip(NEXT) | instid1(VALU_DEP_2)
	v_fma_f64 v[24:25], v[28:29], s[0:1], v[16:17]
	v_fma_f64 v[26:27], v[30:31], s[0:1], v[18:19]
	s_wait_alu 0xfffe
	s_delay_alu instid0(VALU_DEP_2) | instskip(NEXT) | instid1(VALU_DEP_2)
	v_fma_f64 v[24:25], v[30:31], s[6:7], v[24:25]
	v_fma_f64 v[26:27], v[28:29], s[0:1], v[26:27]
	s_and_saveexec_b32 s10, vcc_lo
	s_cbranch_execz .LBB0_7
; %bb.6:
	v_fma_f64 v[2:3], v[2:3], 2.0, -v[34:35]
	v_fma_f64 v[6:7], v[6:7], 2.0, -v[42:43]
	;; [unrolled: 1-line block ×12, first 2 shown]
	v_add_f64_e64 v[28:29], v[2:3], -v[6:7]
	v_add_f64_e64 v[6:7], v[10:11], -v[14:15]
	;; [unrolled: 1-line block ×4, first 2 shown]
	v_fma_f64 v[12:13], v[22:23], s[6:7], v[34:35]
	v_fma_f64 v[14:15], v[20:21], s[6:7], v[36:37]
	v_fma_f64 v[32:33], v[2:3], 2.0, -v[28:29]
	v_fma_f64 v[10:11], v[10:11], 2.0, -v[6:7]
	;; [unrolled: 1-line block ×4, first 2 shown]
	v_add_f64_e32 v[2:3], v[28:29], v[4:5]
	v_add_f64_e64 v[0:1], v[30:31], -v[6:7]
	v_fma_f64 v[6:7], v[20:21], s[0:1], v[12:13]
	v_fma_f64 v[4:5], v[22:23], s[6:7], v[14:15]
	v_fma_f64 v[14:15], v[18:19], 2.0, -v[26:27]
	v_fma_f64 v[12:13], v[16:17], 2.0, -v[24:25]
	v_and_b32_e32 v16, 0xffff, v83
	s_delay_alu instid0(VALU_DEP_1)
	v_lshlrev_b32_e32 v16, 4, v16
	v_add_f64_e64 v[10:11], v[32:33], -v[10:11]
	v_add_f64_e64 v[8:9], v[38:39], -v[8:9]
	v_fma_f64 v[20:21], v[28:29], 2.0, -v[2:3]
	v_fma_f64 v[18:19], v[30:31], 2.0, -v[0:1]
	v_fma_f64 v[30:31], v[34:35], 2.0, -v[6:7]
	v_fma_f64 v[28:29], v[36:37], 2.0, -v[4:5]
	v_fma_f64 v[34:35], v[32:33], 2.0, -v[10:11]
	v_fma_f64 v[32:33], v[38:39], 2.0, -v[8:9]
	ds_store_b128 v16, v[18:21] offset:32
	ds_store_b128 v16, v[12:15] offset:48
	;; [unrolled: 1-line block ×4, first 2 shown]
	ds_store_b128 v16, v[32:35]
	ds_store_b128 v16, v[28:31] offset:16
	ds_store_b128 v16, v[0:3] offset:96
	;; [unrolled: 1-line block ×3, first 2 shown]
.LBB0_7:
	s_wait_alu 0xfffe
	s_or_b32 exec_lo, exec_lo, s10
	v_and_b32_e32 v76, 7, v81
	s_load_b128 s[0:3], s[2:3], 0x0
	global_wb scope:SCOPE_SE
	s_wait_dscnt 0x0
	s_wait_kmcnt 0x0
	s_barrier_signal -1
	s_barrier_wait -1
	v_mul_u32_u24_e32 v0, 6, v76
	global_inv scope:SCOPE_SE
	s_mov_b32 s10, 0x37e14327
	s_mov_b32 s14, 0xe976ee23
	;; [unrolled: 1-line block ×3, first 2 shown]
	v_lshlrev_b32_e32 v12, 4, v0
	s_mov_b32 s15, 0xbfe11646
	s_mov_b32 s6, 0x429ad128
	;; [unrolled: 1-line block ×4, first 2 shown]
	s_clause 0x5
	global_load_b128 v[4:7], v12, s[4:5]
	global_load_b128 v[0:3], v12, s[4:5] offset:16
	global_load_b128 v[8:11], v12, s[4:5] offset:80
	;; [unrolled: 1-line block ×5, first 2 shown]
	ds_load_b128 v[28:31], v82 offset:896
	ds_load_b128 v[32:35], v82 offset:1792
	ds_load_b128 v[36:39], v82 offset:5376
	ds_load_b128 v[40:43], v82 offset:4480
	ds_load_b128 v[44:47], v82 offset:2688
	ds_load_b128 v[48:51], v82 offset:3584
	s_mov_b32 s17, 0x3fac98ee
	s_mov_b32 s18, 0xaaaaaaaa
	;; [unrolled: 1-line block ×13, first 2 shown]
	s_wait_loadcnt_dscnt 0x505
	v_mul_f64_e32 v[52:53], v[30:31], v[6:7]
	v_mul_f64_e32 v[54:55], v[28:29], v[6:7]
	s_wait_loadcnt_dscnt 0x404
	v_mul_f64_e32 v[56:57], v[34:35], v[2:3]
	v_mul_f64_e32 v[58:59], v[32:33], v[2:3]
	;; [unrolled: 3-line block ×6, first 2 shown]
	v_fma_f64 v[28:29], v[28:29], v[4:5], -v[52:53]
	v_fma_f64 v[30:31], v[30:31], v[4:5], v[54:55]
	v_fma_f64 v[32:33], v[32:33], v[0:1], -v[56:57]
	v_fma_f64 v[34:35], v[34:35], v[0:1], v[58:59]
	;; [unrolled: 2-line block ×6, first 2 shown]
	v_add_f64_e32 v[52:53], v[28:29], v[36:37]
	v_add_f64_e32 v[54:55], v[30:31], v[38:39]
	;; [unrolled: 1-line block ×4, first 2 shown]
	v_add_f64_e64 v[32:33], v[32:33], -v[40:41]
	v_add_f64_e64 v[34:35], v[34:35], -v[42:43]
	v_add_f64_e32 v[40:41], v[44:45], v[48:49]
	v_add_f64_e32 v[42:43], v[46:47], v[50:51]
	v_add_f64_e64 v[44:45], v[48:49], -v[44:45]
	v_add_f64_e64 v[46:47], v[50:51], -v[46:47]
	;; [unrolled: 1-line block ×4, first 2 shown]
	v_add_f64_e32 v[28:29], v[56:57], v[52:53]
	v_add_f64_e32 v[30:31], v[58:59], v[54:55]
	v_add_f64_e64 v[48:49], v[52:53], -v[40:41]
	v_add_f64_e64 v[50:51], v[54:55], -v[42:43]
	;; [unrolled: 1-line block ×6, first 2 shown]
	v_add_f64_e32 v[32:33], v[44:45], v[32:33]
	v_add_f64_e32 v[34:35], v[46:47], v[34:35]
	v_add_f64_e64 v[44:45], v[36:37], -v[44:45]
	v_add_f64_e64 v[46:47], v[38:39], -v[46:47]
	;; [unrolled: 1-line block ×4, first 2 shown]
	v_add_f64_e32 v[68:69], v[40:41], v[28:29]
	v_add_f64_e32 v[70:71], v[42:43], v[30:31]
	v_add_f64_e64 v[40:41], v[40:41], -v[56:57]
	v_add_f64_e64 v[42:43], v[42:43], -v[58:59]
	ds_load_b128 v[28:31], v82
	s_wait_alu 0xfffe
	v_mul_f64_e32 v[48:49], s[10:11], v[48:49]
	v_mul_f64_e32 v[50:51], s[10:11], v[50:51]
	;; [unrolled: 1-line block ×6, first 2 shown]
	v_add_f64_e32 v[32:33], v[32:33], v[36:37]
	v_add_f64_e32 v[34:35], v[34:35], v[38:39]
	global_wb scope:SCOPE_SE
	s_wait_dscnt 0x0
	s_barrier_signal -1
	s_barrier_wait -1
	global_inv scope:SCOPE_SE
	v_add_f64_e32 v[28:29], v[28:29], v[68:69]
	v_add_f64_e32 v[30:31], v[30:31], v[70:71]
	v_mul_f64_e32 v[56:57], s[16:17], v[40:41]
	v_mul_f64_e32 v[58:59], s[16:17], v[42:43]
	v_fma_f64 v[36:37], v[40:41], s[16:17], v[48:49]
	v_fma_f64 v[38:39], v[42:43], s[16:17], v[50:51]
	;; [unrolled: 1-line block ×4, first 2 shown]
	v_fma_f64 v[60:61], v[64:65], s[6:7], -v[60:61]
	v_fma_f64 v[62:63], v[66:67], s[6:7], -v[62:63]
	;; [unrolled: 1-line block ×6, first 2 shown]
	v_fma_f64 v[64:65], v[68:69], s[18:19], v[28:29]
	v_fma_f64 v[66:67], v[70:71], s[18:19], v[30:31]
	v_fma_f64 v[52:53], v[52:53], s[20:21], -v[56:57]
	v_fma_f64 v[54:55], v[54:55], s[20:21], -v[58:59]
	v_fma_f64 v[56:57], v[32:33], s[28:29], v[40:41]
	v_fma_f64 v[58:59], v[34:35], s[28:29], v[42:43]
	;; [unrolled: 1-line block ×6, first 2 shown]
	v_add_f64_e32 v[72:73], v[36:37], v[64:65]
	v_add_f64_e32 v[74:75], v[38:39], v[66:67]
	v_add_f64_e32 v[48:49], v[48:49], v[64:65]
	v_add_f64_e32 v[50:51], v[50:51], v[66:67]
	v_add_f64_e32 v[44:45], v[52:53], v[64:65]
	v_add_f64_e32 v[46:47], v[54:55], v[66:67]
	v_add_f64_e32 v[32:33], v[58:59], v[72:73]
	v_add_f64_e64 v[34:35], v[74:75], -v[56:57]
	v_add_f64_e32 v[36:37], v[70:71], v[48:49]
	v_add_f64_e64 v[38:39], v[50:51], -v[68:69]
	v_add_f64_e64 v[40:41], v[44:45], -v[62:63]
	v_add_f64_e32 v[42:43], v[60:61], v[46:47]
	v_add_f64_e32 v[44:45], v[62:63], v[44:45]
	v_add_f64_e64 v[46:47], v[46:47], -v[60:61]
	v_add_f64_e64 v[48:49], v[48:49], -v[70:71]
	v_add_f64_e32 v[50:51], v[68:69], v[50:51]
	v_add_f64_e64 v[52:53], v[72:73], -v[58:59]
	v_add_f64_e32 v[54:55], v[56:57], v[74:75]
	v_lshrrev_b32_e32 v56, 3, v81
	s_delay_alu instid0(VALU_DEP_1) | instskip(NEXT) | instid1(VALU_DEP_1)
	v_mul_u32_u24_e32 v56, 56, v56
	v_or_b32_e32 v58, v56, v76
	v_mad_co_u64_u32 v[56:57], null, 0x60, v81, s[4:5]
	s_delay_alu instid0(VALU_DEP_2)
	v_lshlrev_b32_e32 v84, 4, v58
	ds_store_b128 v84, v[28:31]
	ds_store_b128 v84, v[32:35] offset:128
	ds_store_b128 v84, v[36:39] offset:256
	;; [unrolled: 1-line block ×6, first 2 shown]
	global_wb scope:SCOPE_SE
	s_wait_dscnt 0x0
	s_barrier_signal -1
	s_barrier_wait -1
	global_inv scope:SCOPE_SE
	s_clause 0x5
	global_load_b128 v[32:35], v[56:57], off offset:768
	global_load_b128 v[28:31], v[56:57], off offset:784
	global_load_b128 v[36:39], v[56:57], off offset:848
	global_load_b128 v[48:51], v[56:57], off offset:832
	global_load_b128 v[44:47], v[56:57], off offset:800
	global_load_b128 v[40:43], v[56:57], off offset:816
	ds_load_b128 v[52:55], v82 offset:896
	ds_load_b128 v[56:59], v82 offset:1792
	;; [unrolled: 1-line block ×6, first 2 shown]
	s_wait_loadcnt_dscnt 0x505
	v_mul_f64_e32 v[76:77], v[54:55], v[34:35]
	v_mul_f64_e32 v[78:79], v[52:53], v[34:35]
	s_wait_loadcnt_dscnt 0x404
	v_mul_f64_e32 v[85:86], v[58:59], v[30:31]
	v_mul_f64_e32 v[87:88], v[56:57], v[30:31]
	;; [unrolled: 3-line block ×6, first 2 shown]
	v_fma_f64 v[52:53], v[52:53], v[32:33], -v[76:77]
	v_fma_f64 v[54:55], v[54:55], v[32:33], v[78:79]
	v_fma_f64 v[56:57], v[56:57], v[28:29], -v[85:86]
	v_fma_f64 v[58:59], v[58:59], v[28:29], v[87:88]
	v_fma_f64 v[60:61], v[60:61], v[36:37], -v[89:90]
	v_fma_f64 v[62:63], v[62:63], v[36:37], v[91:92]
	v_fma_f64 v[64:65], v[64:65], v[48:49], -v[93:94]
	v_fma_f64 v[66:67], v[66:67], v[48:49], v[95:96]
	v_fma_f64 v[68:69], v[68:69], v[44:45], -v[97:98]
	v_fma_f64 v[70:71], v[70:71], v[44:45], v[99:100]
	v_fma_f64 v[72:73], v[72:73], v[40:41], -v[101:102]
	v_fma_f64 v[74:75], v[74:75], v[40:41], v[103:104]
	v_add_f64_e32 v[76:77], v[52:53], v[60:61]
	v_add_f64_e32 v[78:79], v[54:55], v[62:63]
	;; [unrolled: 1-line block ×4, first 2 shown]
	v_add_f64_e64 v[56:57], v[56:57], -v[64:65]
	v_add_f64_e64 v[58:59], v[58:59], -v[66:67]
	v_add_f64_e32 v[64:65], v[68:69], v[72:73]
	v_add_f64_e32 v[66:67], v[70:71], v[74:75]
	v_add_f64_e64 v[68:69], v[72:73], -v[68:69]
	v_add_f64_e64 v[70:71], v[74:75], -v[70:71]
	;; [unrolled: 1-line block ×4, first 2 shown]
	v_add_f64_e32 v[52:53], v[85:86], v[76:77]
	v_add_f64_e32 v[54:55], v[87:88], v[78:79]
	v_add_f64_e64 v[72:73], v[76:77], -v[64:65]
	v_add_f64_e64 v[74:75], v[78:79], -v[66:67]
	;; [unrolled: 1-line block ×6, first 2 shown]
	v_add_f64_e32 v[56:57], v[68:69], v[56:57]
	v_add_f64_e32 v[58:59], v[70:71], v[58:59]
	v_add_f64_e64 v[68:69], v[60:61], -v[68:69]
	v_add_f64_e64 v[70:71], v[62:63], -v[70:71]
	;; [unrolled: 1-line block ×4, first 2 shown]
	v_add_f64_e32 v[97:98], v[64:65], v[52:53]
	v_add_f64_e32 v[99:100], v[66:67], v[54:55]
	v_add_f64_e64 v[64:65], v[64:65], -v[85:86]
	v_add_f64_e64 v[66:67], v[66:67], -v[87:88]
	ds_load_b128 v[52:55], v82
	v_mul_f64_e32 v[72:73], s[10:11], v[72:73]
	v_mul_f64_e32 v[74:75], s[10:11], v[74:75]
	;; [unrolled: 1-line block ×6, first 2 shown]
	v_add_f64_e32 v[56:57], v[56:57], v[60:61]
	v_add_f64_e32 v[58:59], v[58:59], v[62:63]
	s_wait_dscnt 0x0
	v_add_f64_e32 v[52:53], v[52:53], v[97:98]
	v_add_f64_e32 v[54:55], v[54:55], v[99:100]
	v_mul_f64_e32 v[85:86], s[16:17], v[64:65]
	v_mul_f64_e32 v[87:88], s[16:17], v[66:67]
	v_fma_f64 v[60:61], v[64:65], s[16:17], v[72:73]
	v_fma_f64 v[62:63], v[66:67], s[16:17], v[74:75]
	;; [unrolled: 1-line block ×4, first 2 shown]
	v_fma_f64 v[89:90], v[93:94], s[6:7], -v[89:90]
	v_fma_f64 v[91:92], v[95:96], s[6:7], -v[91:92]
	;; [unrolled: 1-line block ×6, first 2 shown]
	v_fma_f64 v[93:94], v[97:98], s[18:19], v[52:53]
	v_fma_f64 v[95:96], v[99:100], s[18:19], v[54:55]
	v_fma_f64 v[76:77], v[76:77], s[20:21], -v[85:86]
	v_fma_f64 v[78:79], v[78:79], s[20:21], -v[87:88]
	v_fma_f64 v[85:86], v[56:57], s[28:29], v[64:65]
	v_fma_f64 v[87:88], v[58:59], s[28:29], v[66:67]
	;; [unrolled: 1-line block ×6, first 2 shown]
	v_add_f64_e32 v[101:102], v[60:61], v[93:94]
	v_add_f64_e32 v[103:104], v[62:63], v[95:96]
	;; [unrolled: 1-line block ×7, first 2 shown]
	v_add_f64_e64 v[58:59], v[103:104], -v[85:86]
	v_add_f64_e32 v[60:61], v[99:100], v[72:73]
	v_add_f64_e64 v[62:63], v[74:75], -v[97:98]
	v_add_f64_e64 v[64:65], v[68:69], -v[91:92]
	v_add_f64_e32 v[66:67], v[89:90], v[70:71]
	v_add_f64_e32 v[68:69], v[91:92], v[68:69]
	v_add_f64_e64 v[70:71], v[70:71], -v[89:90]
	v_add_f64_e64 v[72:73], v[72:73], -v[99:100]
	v_add_f64_e32 v[74:75], v[97:98], v[74:75]
	v_add_f64_e64 v[76:77], v[101:102], -v[87:88]
	v_add_f64_e32 v[78:79], v[85:86], v[103:104]
	ds_store_b128 v82, v[52:55]
	ds_store_b128 v82, v[56:59] offset:896
	ds_store_b128 v82, v[60:63] offset:1792
	;; [unrolled: 1-line block ×6, first 2 shown]
	global_wb scope:SCOPE_SE
	s_wait_dscnt 0x0
	s_barrier_signal -1
	s_barrier_wait -1
	global_inv scope:SCOPE_SE
	s_and_saveexec_b32 s6, vcc_lo
	s_cbranch_execz .LBB0_9
; %bb.8:
	s_add_nc_u64 s[4:5], s[12:13], 0x1880
	s_clause 0x7
	global_load_b128 v[85:88], v82, s[12:13] offset:6272
	global_load_b128 v[89:92], v82, s[4:5] offset:784
	;; [unrolled: 1-line block ×8, first 2 shown]
	ds_load_b128 v[117:120], v82
	ds_load_b128 v[121:124], v82 offset:784
	ds_load_b128 v[125:128], v82 offset:1568
	;; [unrolled: 1-line block ×7, first 2 shown]
	s_wait_loadcnt_dscnt 0x707
	v_mul_f64_e32 v[149:150], v[119:120], v[87:88]
	v_mul_f64_e32 v[87:88], v[117:118], v[87:88]
	s_wait_loadcnt_dscnt 0x606
	v_mul_f64_e32 v[151:152], v[123:124], v[91:92]
	v_mul_f64_e32 v[91:92], v[121:122], v[91:92]
	;; [unrolled: 3-line block ×8, first 2 shown]
	v_fma_f64 v[115:116], v[117:118], v[85:86], -v[149:150]
	v_fma_f64 v[117:118], v[119:120], v[85:86], v[87:88]
	v_fma_f64 v[85:86], v[121:122], v[89:90], -v[151:152]
	v_fma_f64 v[87:88], v[123:124], v[89:90], v[91:92]
	;; [unrolled: 2-line block ×8, first 2 shown]
	ds_store_b128 v82, v[115:118]
	ds_store_b128 v82, v[85:88] offset:784
	ds_store_b128 v82, v[89:92] offset:1568
	;; [unrolled: 1-line block ×7, first 2 shown]
.LBB0_9:
	s_wait_alu 0xfffe
	s_or_b32 exec_lo, exec_lo, s6
	global_wb scope:SCOPE_SE
	s_wait_dscnt 0x0
	s_barrier_signal -1
	s_barrier_wait -1
	global_inv scope:SCOPE_SE
	s_and_saveexec_b32 s4, vcc_lo
	s_cbranch_execz .LBB0_11
; %bb.10:
	ds_load_b128 v[52:55], v82
	ds_load_b128 v[56:59], v82 offset:784
	ds_load_b128 v[60:63], v82 offset:1568
	;; [unrolled: 1-line block ×7, first 2 shown]
.LBB0_11:
	s_wait_alu 0xfffe
	s_or_b32 exec_lo, exec_lo, s4
	global_wb scope:SCOPE_SE
	s_wait_dscnt 0x0
	s_barrier_signal -1
	s_barrier_wait -1
	global_inv scope:SCOPE_SE
	s_and_saveexec_b32 s4, vcc_lo
	s_cbranch_execz .LBB0_13
; %bb.12:
	v_add_f64_e64 v[70:71], v[54:55], -v[70:71]
	v_add_f64_e64 v[76:77], v[60:61], -v[76:77]
	;; [unrolled: 1-line block ×8, first 2 shown]
	s_mov_b32 s6, 0x667f3bcd
	s_mov_b32 s7, 0x3fe6a09e
	;; [unrolled: 1-line block ×3, first 2 shown]
	s_wait_alu 0xfffe
	s_mov_b32 s10, s6
	v_and_b32_e32 v83, 0xffff, v83
	s_delay_alu instid0(VALU_DEP_1)
	v_lshlrev_b32_e32 v83, 4, v83
	v_fma_f64 v[54:55], v[54:55], 2.0, -v[70:71]
	v_add_f64_e64 v[85:86], v[70:71], -v[76:77]
	v_fma_f64 v[58:59], v[58:59], 2.0, -v[74:75]
	v_add_f64_e64 v[87:88], v[74:75], -v[24:25]
	v_fma_f64 v[62:63], v[62:63], 2.0, -v[78:79]
	v_fma_f64 v[56:57], v[56:57], 2.0, -v[72:73]
	;; [unrolled: 1-line block ×6, first 2 shown]
	v_add_f64_e32 v[26:27], v[26:27], v[72:73]
	v_add_f64_e32 v[76:77], v[78:79], v[68:69]
	v_fma_f64 v[89:90], v[70:71], 2.0, -v[85:86]
	v_fma_f64 v[66:67], v[74:75], 2.0, -v[87:88]
	v_add_f64_e64 v[78:79], v[54:55], -v[62:63]
	v_add_f64_e64 v[24:25], v[56:57], -v[24:25]
	;; [unrolled: 1-line block ×4, first 2 shown]
	v_fma_f64 v[60:61], v[72:73], 2.0, -v[26:27]
	v_fma_f64 v[72:73], v[68:69], 2.0, -v[76:77]
	v_fma_f64 v[68:69], v[87:88], s[6:7], v[85:86]
	v_fma_f64 v[70:71], v[26:27], s[6:7], v[76:77]
	s_wait_alu 0xfffe
	v_fma_f64 v[74:75], v[66:67], s[10:11], v[89:90]
	v_fma_f64 v[91:92], v[54:55], 2.0, -v[78:79]
	v_fma_f64 v[56:57], v[56:57], 2.0, -v[24:25]
	v_add_f64_e64 v[54:55], v[78:79], -v[24:25]
	v_fma_f64 v[93:94], v[58:59], 2.0, -v[62:63]
	v_fma_f64 v[95:96], v[52:53], 2.0, -v[64:65]
	v_add_f64_e32 v[52:53], v[64:65], v[62:63]
	v_fma_f64 v[97:98], v[60:61], s[10:11], v[72:73]
	v_fma_f64 v[26:27], v[26:27], s[10:11], v[68:69]
	;; [unrolled: 1-line block ×4, first 2 shown]
	v_fma_f64 v[70:71], v[78:79], 2.0, -v[54:55]
	v_add_f64_e64 v[62:63], v[91:92], -v[93:94]
	v_add_f64_e64 v[60:61], v[95:96], -v[56:57]
	v_fma_f64 v[68:69], v[64:65], 2.0, -v[52:53]
	v_fma_f64 v[56:57], v[66:67], s[6:7], v[97:98]
	v_fma_f64 v[66:67], v[85:86], 2.0, -v[26:27]
	v_fma_f64 v[64:65], v[76:77], 2.0, -v[24:25]
	;; [unrolled: 1-line block ×6, first 2 shown]
	ds_store_b128 v83, v[68:71] offset:32
	ds_store_b128 v83, v[64:67] offset:48
	;; [unrolled: 1-line block ×4, first 2 shown]
	ds_store_b128 v83, v[76:79]
	ds_store_b128 v83, v[72:75] offset:16
	ds_store_b128 v83, v[52:55] offset:96
	;; [unrolled: 1-line block ×3, first 2 shown]
.LBB0_13:
	s_wait_alu 0xfffe
	s_or_b32 exec_lo, exec_lo, s4
	global_wb scope:SCOPE_SE
	s_wait_dscnt 0x0
	s_barrier_signal -1
	s_barrier_wait -1
	global_inv scope:SCOPE_SE
	ds_load_b128 v[24:27], v82 offset:896
	ds_load_b128 v[52:55], v82 offset:1792
	;; [unrolled: 1-line block ×6, first 2 shown]
	s_mov_b32 s6, 0x37e14327
	s_mov_b32 s10, 0xe976ee23
	;; [unrolled: 1-line block ×14, first 2 shown]
	s_wait_dscnt 0x5
	v_mul_f64_e32 v[72:73], v[6:7], v[26:27]
	v_mul_f64_e32 v[6:7], v[6:7], v[24:25]
	s_wait_dscnt 0x4
	v_mul_f64_e32 v[74:75], v[2:3], v[54:55]
	v_mul_f64_e32 v[2:3], v[2:3], v[52:53]
	;; [unrolled: 3-line block ×6, first 2 shown]
	s_mov_b32 s21, 0xbfe77f67
	s_mov_b32 s25, 0x3fd5d0dc
	s_wait_alu 0xfffe
	s_mov_b32 s20, s18
	s_mov_b32 s24, s22
	;; [unrolled: 1-line block ×4, first 2 shown]
	v_fma_f64 v[24:25], v[4:5], v[24:25], v[72:73]
	v_fma_f64 v[4:5], v[4:5], v[26:27], -v[6:7]
	v_fma_f64 v[6:7], v[0:1], v[52:53], v[74:75]
	v_fma_f64 v[0:1], v[0:1], v[54:55], -v[2:3]
	;; [unrolled: 2-line block ×6, first 2 shown]
	v_add_f64_e32 v[14:15], v[24:25], v[2:3]
	v_add_f64_e32 v[26:27], v[4:5], v[8:9]
	;; [unrolled: 1-line block ×4, first 2 shown]
	v_add_f64_e64 v[6:7], v[6:7], -v[10:11]
	v_add_f64_e64 v[10:11], v[0:1], -v[20:21]
	v_add_f64_e32 v[0:1], v[22:23], v[18:19]
	v_add_f64_e32 v[20:21], v[16:17], v[12:13]
	v_add_f64_e64 v[18:19], v[18:19], -v[22:23]
	v_add_f64_e64 v[12:13], v[12:13], -v[16:17]
	;; [unrolled: 1-line block ×4, first 2 shown]
	v_add_f64_e32 v[2:3], v[52:53], v[14:15]
	v_add_f64_e32 v[8:9], v[54:55], v[26:27]
	v_add_f64_e64 v[22:23], v[14:15], -v[0:1]
	v_add_f64_e64 v[24:25], v[26:27], -v[20:21]
	;; [unrolled: 1-line block ×7, first 2 shown]
	v_add_f64_e32 v[6:7], v[18:19], v[6:7]
	v_add_f64_e32 v[10:11], v[12:13], v[10:11]
	v_add_f64_e64 v[18:19], v[16:17], -v[18:19]
	v_add_f64_e64 v[12:13], v[4:5], -v[12:13]
	;; [unrolled: 1-line block ×4, first 2 shown]
	v_add_f64_e32 v[64:65], v[0:1], v[2:3]
	v_add_f64_e32 v[8:9], v[20:21], v[8:9]
	v_add_f64_e64 v[20:21], v[20:21], -v[54:55]
	ds_load_b128 v[0:3], v82
	v_mul_f64_e32 v[22:23], s[6:7], v[22:23]
	v_mul_f64_e32 v[24:25], s[6:7], v[24:25]
	;; [unrolled: 1-line block ×7, first 2 shown]
	v_add_f64_e32 v[6:7], v[6:7], v[16:17]
	v_add_f64_e32 v[4:5], v[10:11], v[4:5]
	global_wb scope:SCOPE_SE
	s_wait_dscnt 0x0
	s_barrier_signal -1
	s_barrier_wait -1
	global_inv scope:SCOPE_SE
	v_add_f64_e32 v[0:1], v[0:1], v[64:65]
	v_add_f64_e32 v[2:3], v[2:3], v[8:9]
	v_mul_f64_e32 v[54:55], s[14:15], v[20:21]
	v_fma_f64 v[10:11], v[66:67], s[14:15], v[22:23]
	v_fma_f64 v[16:17], v[20:21], s[14:15], v[24:25]
	;; [unrolled: 1-line block ×4, first 2 shown]
	v_fma_f64 v[56:57], v[60:61], s[4:5], -v[56:57]
	v_fma_f64 v[58:59], v[62:63], s[4:5], -v[58:59]
	s_wait_alu 0xfffe
	v_fma_f64 v[18:19], v[18:19], s[24:25], -v[68:69]
	v_fma_f64 v[12:13], v[12:13], s[24:25], -v[70:71]
	;; [unrolled: 1-line block ×5, first 2 shown]
	v_fma_f64 v[60:61], v[64:65], s[16:17], v[0:1]
	v_fma_f64 v[8:9], v[8:9], s[16:17], v[2:3]
	v_fma_f64 v[26:27], v[26:27], s[18:19], -v[54:55]
	v_fma_f64 v[52:53], v[6:7], s[26:27], v[20:21]
	v_fma_f64 v[54:55], v[4:5], s[26:27], v[66:67]
	;; [unrolled: 1-line block ×6, first 2 shown]
	v_add_f64_e32 v[64:65], v[10:11], v[60:61]
	v_add_f64_e32 v[66:67], v[16:17], v[8:9]
	;; [unrolled: 1-line block ×7, first 2 shown]
	v_add_f64_e64 v[6:7], v[66:67], -v[52:53]
	v_add_f64_e32 v[8:9], v[62:63], v[22:23]
	v_add_f64_e64 v[10:11], v[24:25], -v[58:59]
	v_add_f64_e64 v[12:13], v[16:17], -v[56:57]
	v_add_f64_e32 v[14:15], v[20:21], v[18:19]
	v_add_f64_e32 v[16:17], v[56:57], v[16:17]
	v_add_f64_e64 v[18:19], v[18:19], -v[20:21]
	v_add_f64_e64 v[20:21], v[22:23], -v[62:63]
	v_add_f64_e32 v[22:23], v[58:59], v[24:25]
	v_add_f64_e64 v[24:25], v[64:65], -v[54:55]
	v_add_f64_e32 v[26:27], v[52:53], v[66:67]
	ds_store_b128 v84, v[0:3]
	ds_store_b128 v84, v[4:7] offset:128
	ds_store_b128 v84, v[8:11] offset:256
	;; [unrolled: 1-line block ×6, first 2 shown]
	global_wb scope:SCOPE_SE
	s_wait_dscnt 0x0
	s_barrier_signal -1
	s_barrier_wait -1
	global_inv scope:SCOPE_SE
	ds_load_b128 v[0:3], v82 offset:896
	ds_load_b128 v[4:7], v82 offset:1792
	;; [unrolled: 1-line block ×6, first 2 shown]
	s_wait_dscnt 0x5
	v_mul_f64_e32 v[24:25], v[34:35], v[2:3]
	v_mul_f64_e32 v[26:27], v[34:35], v[0:1]
	s_wait_dscnt 0x4
	v_mul_f64_e32 v[34:35], v[30:31], v[6:7]
	v_mul_f64_e32 v[30:31], v[30:31], v[4:5]
	;; [unrolled: 3-line block ×6, first 2 shown]
	v_fma_f64 v[0:1], v[32:33], v[0:1], v[24:25]
	v_fma_f64 v[2:3], v[32:33], v[2:3], -v[26:27]
	v_fma_f64 v[4:5], v[28:29], v[4:5], v[34:35]
	v_fma_f64 v[6:7], v[28:29], v[6:7], -v[30:31]
	;; [unrolled: 2-line block ×6, first 2 shown]
	v_add_f64_e32 v[24:25], v[0:1], v[8:9]
	v_add_f64_e32 v[26:27], v[2:3], v[10:11]
	;; [unrolled: 1-line block ×4, first 2 shown]
	v_add_f64_e64 v[4:5], v[4:5], -v[12:13]
	v_add_f64_e64 v[6:7], v[6:7], -v[14:15]
	v_add_f64_e32 v[12:13], v[16:17], v[20:21]
	v_add_f64_e32 v[14:15], v[18:19], v[22:23]
	v_add_f64_e64 v[16:17], v[20:21], -v[16:17]
	v_add_f64_e64 v[18:19], v[22:23], -v[18:19]
	;; [unrolled: 1-line block ×4, first 2 shown]
	v_add_f64_e32 v[0:1], v[28:29], v[24:25]
	v_add_f64_e32 v[2:3], v[30:31], v[26:27]
	v_add_f64_e64 v[20:21], v[24:25], -v[12:13]
	v_add_f64_e64 v[22:23], v[26:27], -v[14:15]
	;; [unrolled: 1-line block ×6, first 2 shown]
	v_add_f64_e32 v[4:5], v[16:17], v[4:5]
	v_add_f64_e32 v[6:7], v[18:19], v[6:7]
	v_add_f64_e64 v[16:17], v[8:9], -v[16:17]
	v_add_f64_e64 v[18:19], v[10:11], -v[18:19]
	;; [unrolled: 1-line block ×4, first 2 shown]
	v_add_f64_e32 v[40:41], v[12:13], v[0:1]
	v_add_f64_e32 v[42:43], v[14:15], v[2:3]
	v_add_f64_e64 v[12:13], v[12:13], -v[28:29]
	v_add_f64_e64 v[14:15], v[14:15], -v[30:31]
	ds_load_b128 v[0:3], v82
	v_mul_f64_e32 v[20:21], s[6:7], v[20:21]
	v_mul_f64_e32 v[22:23], s[6:7], v[22:23]
	;; [unrolled: 1-line block ×6, first 2 shown]
	v_add_f64_e32 v[4:5], v[4:5], v[8:9]
	v_add_f64_e32 v[6:7], v[6:7], v[10:11]
	s_wait_dscnt 0x0
	v_add_f64_e32 v[0:1], v[0:1], v[40:41]
	v_add_f64_e32 v[2:3], v[2:3], v[42:43]
	v_mul_f64_e32 v[28:29], s[14:15], v[12:13]
	v_mul_f64_e32 v[30:31], s[14:15], v[14:15]
	v_fma_f64 v[8:9], v[12:13], s[14:15], v[20:21]
	v_fma_f64 v[10:11], v[14:15], s[14:15], v[22:23]
	v_fma_f64 v[12:13], v[16:17], s[22:23], v[32:33]
	v_fma_f64 v[14:15], v[18:19], s[22:23], v[34:35]
	v_fma_f64 v[32:33], v[36:37], s[4:5], -v[32:33]
	v_fma_f64 v[34:35], v[38:39], s[4:5], -v[34:35]
	v_fma_f64 v[16:17], v[16:17], s[24:25], -v[44:45]
	v_fma_f64 v[18:19], v[18:19], s[24:25], -v[46:47]
	v_fma_f64 v[20:21], v[24:25], s[20:21], -v[20:21]
	v_fma_f64 v[22:23], v[26:27], s[20:21], -v[22:23]
	v_fma_f64 v[36:37], v[40:41], s[16:17], v[0:1]
	v_fma_f64 v[38:39], v[42:43], s[16:17], v[2:3]
	v_fma_f64 v[24:25], v[24:25], s[18:19], -v[28:29]
	v_fma_f64 v[26:27], v[26:27], s[18:19], -v[30:31]
	v_fma_f64 v[28:29], v[4:5], s[26:27], v[12:13]
	v_fma_f64 v[30:31], v[6:7], s[26:27], v[14:15]
	;; [unrolled: 1-line block ×6, first 2 shown]
	v_add_f64_e32 v[44:45], v[8:9], v[36:37]
	v_add_f64_e32 v[46:47], v[10:11], v[38:39]
	;; [unrolled: 1-line block ×7, first 2 shown]
	v_add_f64_e64 v[6:7], v[46:47], -v[28:29]
	v_add_f64_e32 v[8:9], v[42:43], v[20:21]
	v_add_f64_e64 v[10:11], v[22:23], -v[40:41]
	v_add_f64_e64 v[12:13], v[16:17], -v[34:35]
	v_add_f64_e32 v[14:15], v[32:33], v[18:19]
	v_add_f64_e32 v[16:17], v[34:35], v[16:17]
	v_add_f64_e64 v[18:19], v[18:19], -v[32:33]
	v_add_f64_e64 v[20:21], v[20:21], -v[42:43]
	v_add_f64_e32 v[22:23], v[40:41], v[22:23]
	v_add_f64_e64 v[24:25], v[44:45], -v[30:31]
	v_add_f64_e32 v[26:27], v[28:29], v[46:47]
	ds_store_b128 v82, v[0:3]
	ds_store_b128 v82, v[4:7] offset:896
	ds_store_b128 v82, v[8:11] offset:1792
	;; [unrolled: 1-line block ×6, first 2 shown]
	global_wb scope:SCOPE_SE
	s_wait_dscnt 0x0
	s_barrier_signal -1
	s_barrier_wait -1
	global_inv scope:SCOPE_SE
	s_and_b32 exec_lo, exec_lo, vcc_lo
	s_cbranch_execz .LBB0_15
; %bb.14:
	s_clause 0x7
	global_load_b128 v[0:3], v82, s[12:13]
	global_load_b128 v[4:7], v82, s[12:13] offset:784
	global_load_b128 v[8:11], v82, s[12:13] offset:1568
	;; [unrolled: 1-line block ×7, first 2 shown]
	ds_load_b128 v[32:35], v82
	ds_load_b128 v[36:39], v82 offset:784
	ds_load_b128 v[40:43], v82 offset:1568
	;; [unrolled: 1-line block ×7, first 2 shown]
	v_mad_co_u64_u32 v[82:83], null, s2, v80, 0
	v_mad_co_u64_u32 v[84:85], null, s0, v81, 0
	s_delay_alu instid0(VALU_DEP_1) | instskip(SKIP_2) | instid1(VALU_DEP_1)
	v_mad_co_u64_u32 v[86:87], null, s3, v80, v[83:84]
	s_mov_b32 s2, 0xa72f0539
	s_mov_b32 s3, 0x3f64e5e0
	v_mad_co_u64_u32 v[80:81], null, s1, v81, v[85:86]
	v_mov_b32_e32 v83, v86
	s_mul_u64 s[0:1], s[0:1], 0x310
	s_delay_alu instid0(VALU_DEP_2)
	v_mov_b32_e32 v85, v80
	s_wait_loadcnt_dscnt 0x707
	v_mul_f64_e32 v[64:65], v[34:35], v[2:3]
	v_mul_f64_e32 v[2:3], v[32:33], v[2:3]
	s_wait_loadcnt_dscnt 0x606
	v_mul_f64_e32 v[66:67], v[38:39], v[6:7]
	v_mul_f64_e32 v[6:7], v[36:37], v[6:7]
	s_wait_loadcnt_dscnt 0x505
	v_mul_f64_e32 v[68:69], v[42:43], v[10:11]
	v_mul_f64_e32 v[10:11], v[40:41], v[10:11]
	s_wait_loadcnt_dscnt 0x404
	v_mul_f64_e32 v[70:71], v[46:47], v[14:15]
	v_mul_f64_e32 v[14:15], v[44:45], v[14:15]
	s_wait_loadcnt_dscnt 0x303
	v_mul_f64_e32 v[72:73], v[50:51], v[18:19]
	v_mul_f64_e32 v[18:19], v[48:49], v[18:19]
	s_wait_loadcnt_dscnt 0x202
	v_mul_f64_e32 v[74:75], v[54:55], v[22:23]
	v_mul_f64_e32 v[22:23], v[52:53], v[22:23]
	s_wait_loadcnt_dscnt 0x101
	v_mul_f64_e32 v[76:77], v[58:59], v[26:27]
	v_mul_f64_e32 v[26:27], v[56:57], v[26:27]
	s_wait_loadcnt_dscnt 0x0
	v_mul_f64_e32 v[78:79], v[62:63], v[30:31]
	v_mul_f64_e32 v[30:31], v[60:61], v[30:31]
	v_fma_f64 v[32:33], v[32:33], v[0:1], v[64:65]
	v_fma_f64 v[2:3], v[0:1], v[34:35], -v[2:3]
	v_fma_f64 v[34:35], v[36:37], v[4:5], v[66:67]
	v_fma_f64 v[6:7], v[4:5], v[38:39], -v[6:7]
	;; [unrolled: 2-line block ×8, first 2 shown]
	v_lshlrev_b64_e32 v[0:1], 4, v[82:83]
	v_lshlrev_b64_e32 v[4:5], 4, v[84:85]
	s_delay_alu instid0(VALU_DEP_2) | instskip(NEXT) | instid1(VALU_DEP_3)
	v_add_co_u32 v0, vcc_lo, s8, v0
	v_add_co_ci_u32_e32 v1, vcc_lo, s9, v1, vcc_lo
	s_delay_alu instid0(VALU_DEP_2) | instskip(SKIP_1) | instid1(VALU_DEP_2)
	v_add_co_u32 v48, vcc_lo, v0, v4
	s_wait_alu 0xfffd
	v_add_co_ci_u32_e32 v49, vcc_lo, v1, v5, vcc_lo
	s_wait_alu 0xfffe
	v_mul_f64_e32 v[0:1], s[2:3], v[32:33]
	v_mul_f64_e32 v[2:3], s[2:3], v[2:3]
	;; [unrolled: 1-line block ×14, first 2 shown]
	v_add_co_u32 v32, vcc_lo, v48, s0
	v_mul_f64_e32 v[28:29], s[2:3], v[46:47]
	v_mul_f64_e32 v[30:31], s[2:3], v[30:31]
	s_wait_alu 0xfffd
	v_add_co_ci_u32_e32 v33, vcc_lo, s1, v49, vcc_lo
	v_add_co_u32 v34, vcc_lo, v32, s0
	s_wait_alu 0xfffd
	s_delay_alu instid0(VALU_DEP_2) | instskip(NEXT) | instid1(VALU_DEP_2)
	v_add_co_ci_u32_e32 v35, vcc_lo, s1, v33, vcc_lo
	v_add_co_u32 v36, vcc_lo, v34, s0
	s_wait_alu 0xfffd
	s_delay_alu instid0(VALU_DEP_2) | instskip(NEXT) | instid1(VALU_DEP_2)
	;; [unrolled: 4-line block ×5, first 2 shown]
	v_add_co_ci_u32_e32 v43, vcc_lo, s1, v41, vcc_lo
	v_add_co_u32 v44, vcc_lo, v42, s0
	s_wait_alu 0xfffd
	s_delay_alu instid0(VALU_DEP_2)
	v_add_co_ci_u32_e32 v45, vcc_lo, s1, v43, vcc_lo
	s_clause 0x4
	global_store_b128 v[48:49], v[0:3], off
	global_store_b128 v[32:33], v[4:7], off
	;; [unrolled: 1-line block ×8, first 2 shown]
.LBB0_15:
	s_nop 0
	s_sendmsg sendmsg(MSG_DEALLOC_VGPRS)
	s_endpgm
	.section	.rodata,"a",@progbits
	.p2align	6, 0x0
	.amdhsa_kernel bluestein_single_fwd_len392_dim1_dp_op_CI_CI
		.amdhsa_group_segment_fixed_size 6272
		.amdhsa_private_segment_fixed_size 0
		.amdhsa_kernarg_size 104
		.amdhsa_user_sgpr_count 2
		.amdhsa_user_sgpr_dispatch_ptr 0
		.amdhsa_user_sgpr_queue_ptr 0
		.amdhsa_user_sgpr_kernarg_segment_ptr 1
		.amdhsa_user_sgpr_dispatch_id 0
		.amdhsa_user_sgpr_private_segment_size 0
		.amdhsa_wavefront_size32 1
		.amdhsa_uses_dynamic_stack 0
		.amdhsa_enable_private_segment 0
		.amdhsa_system_sgpr_workgroup_id_x 1
		.amdhsa_system_sgpr_workgroup_id_y 0
		.amdhsa_system_sgpr_workgroup_id_z 0
		.amdhsa_system_sgpr_workgroup_info 0
		.amdhsa_system_vgpr_workitem_id 0
		.amdhsa_next_free_vgpr 167
		.amdhsa_next_free_sgpr 30
		.amdhsa_reserve_vcc 1
		.amdhsa_float_round_mode_32 0
		.amdhsa_float_round_mode_16_64 0
		.amdhsa_float_denorm_mode_32 3
		.amdhsa_float_denorm_mode_16_64 3
		.amdhsa_fp16_overflow 0
		.amdhsa_workgroup_processor_mode 1
		.amdhsa_memory_ordered 1
		.amdhsa_forward_progress 0
		.amdhsa_round_robin_scheduling 0
		.amdhsa_exception_fp_ieee_invalid_op 0
		.amdhsa_exception_fp_denorm_src 0
		.amdhsa_exception_fp_ieee_div_zero 0
		.amdhsa_exception_fp_ieee_overflow 0
		.amdhsa_exception_fp_ieee_underflow 0
		.amdhsa_exception_fp_ieee_inexact 0
		.amdhsa_exception_int_div_zero 0
	.end_amdhsa_kernel
	.text
.Lfunc_end0:
	.size	bluestein_single_fwd_len392_dim1_dp_op_CI_CI, .Lfunc_end0-bluestein_single_fwd_len392_dim1_dp_op_CI_CI
                                        ; -- End function
	.section	.AMDGPU.csdata,"",@progbits
; Kernel info:
; codeLenInByte = 7572
; NumSgprs: 32
; NumVgprs: 167
; ScratchSize: 0
; MemoryBound: 0
; FloatMode: 240
; IeeeMode: 1
; LDSByteSize: 6272 bytes/workgroup (compile time only)
; SGPRBlocks: 3
; VGPRBlocks: 20
; NumSGPRsForWavesPerEU: 32
; NumVGPRsForWavesPerEU: 167
; Occupancy: 9
; WaveLimiterHint : 1
; COMPUTE_PGM_RSRC2:SCRATCH_EN: 0
; COMPUTE_PGM_RSRC2:USER_SGPR: 2
; COMPUTE_PGM_RSRC2:TRAP_HANDLER: 0
; COMPUTE_PGM_RSRC2:TGID_X_EN: 1
; COMPUTE_PGM_RSRC2:TGID_Y_EN: 0
; COMPUTE_PGM_RSRC2:TGID_Z_EN: 0
; COMPUTE_PGM_RSRC2:TIDIG_COMP_CNT: 0
	.text
	.p2alignl 7, 3214868480
	.fill 96, 4, 3214868480
	.type	__hip_cuid_6835963adbb93594,@object ; @__hip_cuid_6835963adbb93594
	.section	.bss,"aw",@nobits
	.globl	__hip_cuid_6835963adbb93594
__hip_cuid_6835963adbb93594:
	.byte	0                               ; 0x0
	.size	__hip_cuid_6835963adbb93594, 1

	.ident	"AMD clang version 19.0.0git (https://github.com/RadeonOpenCompute/llvm-project roc-6.4.0 25133 c7fe45cf4b819c5991fe208aaa96edf142730f1d)"
	.section	".note.GNU-stack","",@progbits
	.addrsig
	.addrsig_sym __hip_cuid_6835963adbb93594
	.amdgpu_metadata
---
amdhsa.kernels:
  - .args:
      - .actual_access:  read_only
        .address_space:  global
        .offset:         0
        .size:           8
        .value_kind:     global_buffer
      - .actual_access:  read_only
        .address_space:  global
        .offset:         8
        .size:           8
        .value_kind:     global_buffer
      - .actual_access:  read_only
        .address_space:  global
        .offset:         16
        .size:           8
        .value_kind:     global_buffer
      - .actual_access:  read_only
        .address_space:  global
        .offset:         24
        .size:           8
        .value_kind:     global_buffer
      - .actual_access:  read_only
        .address_space:  global
        .offset:         32
        .size:           8
        .value_kind:     global_buffer
      - .offset:         40
        .size:           8
        .value_kind:     by_value
      - .address_space:  global
        .offset:         48
        .size:           8
        .value_kind:     global_buffer
      - .address_space:  global
        .offset:         56
        .size:           8
        .value_kind:     global_buffer
      - .address_space:  global
        .offset:         64
        .size:           8
        .value_kind:     global_buffer
      - .address_space:  global
        .offset:         72
        .size:           8
        .value_kind:     global_buffer
      - .offset:         80
        .size:           4
        .value_kind:     by_value
      - .address_space:  global
        .offset:         88
        .size:           8
        .value_kind:     global_buffer
      - .address_space:  global
        .offset:         96
        .size:           8
        .value_kind:     global_buffer
    .group_segment_fixed_size: 6272
    .kernarg_segment_align: 8
    .kernarg_segment_size: 104
    .language:       OpenCL C
    .language_version:
      - 2
      - 0
    .max_flat_workgroup_size: 56
    .name:           bluestein_single_fwd_len392_dim1_dp_op_CI_CI
    .private_segment_fixed_size: 0
    .sgpr_count:     32
    .sgpr_spill_count: 0
    .symbol:         bluestein_single_fwd_len392_dim1_dp_op_CI_CI.kd
    .uniform_work_group_size: 1
    .uses_dynamic_stack: false
    .vgpr_count:     167
    .vgpr_spill_count: 0
    .wavefront_size: 32
    .workgroup_processor_mode: 1
amdhsa.target:   amdgcn-amd-amdhsa--gfx1201
amdhsa.version:
  - 1
  - 2
...

	.end_amdgpu_metadata
